;; amdgpu-corpus repo=ROCm/rocFFT kind=compiled arch=gfx906 opt=O3
	.text
	.amdgcn_target "amdgcn-amd-amdhsa--gfx906"
	.amdhsa_code_object_version 6
	.protected	fft_rtc_fwd_len78_factors_6_13_wgs_247_tpt_13_half_op_CI_CI_unitstride_sbrr_dirReg ; -- Begin function fft_rtc_fwd_len78_factors_6_13_wgs_247_tpt_13_half_op_CI_CI_unitstride_sbrr_dirReg
	.globl	fft_rtc_fwd_len78_factors_6_13_wgs_247_tpt_13_half_op_CI_CI_unitstride_sbrr_dirReg
	.p2align	8
	.type	fft_rtc_fwd_len78_factors_6_13_wgs_247_tpt_13_half_op_CI_CI_unitstride_sbrr_dirReg,@function
fft_rtc_fwd_len78_factors_6_13_wgs_247_tpt_13_half_op_CI_CI_unitstride_sbrr_dirReg: ; @fft_rtc_fwd_len78_factors_6_13_wgs_247_tpt_13_half_op_CI_CI_unitstride_sbrr_dirReg
; %bb.0:
	s_load_dwordx4 s[8:11], s[4:5], 0x58
	s_load_dwordx4 s[12:15], s[4:5], 0x0
	;; [unrolled: 1-line block ×3, first 2 shown]
	v_mul_u32_u24_e32 v1, 0x13b2, v0
	v_lshrrev_b32_e32 v1, 16, v1
	v_mad_u64_u32 v[1:2], s[0:1], s6, 19, v[1:2]
	v_mov_b32_e32 v5, 0
	v_mov_b32_e32 v3, 0
	;; [unrolled: 1-line block ×3, first 2 shown]
	s_waitcnt lgkmcnt(0)
	v_cmp_lt_u64_e64 s[0:1], s[14:15], 2
	v_mov_b32_e32 v4, 0
	v_mov_b32_e32 v13, v4
	;; [unrolled: 1-line block ×3, first 2 shown]
	s_and_b64 vcc, exec, s[0:1]
	v_mov_b32_e32 v12, v3
	v_mov_b32_e32 v28, v1
	s_cbranch_vccnz .LBB0_8
; %bb.1:
	s_load_dwordx2 s[0:1], s[4:5], 0x10
	s_add_u32 s2, s18, 8
	s_addc_u32 s3, s19, 0
	s_add_u32 s6, s16, 8
	v_mov_b32_e32 v3, 0
	s_addc_u32 s7, s17, 0
	v_mov_b32_e32 v4, 0
	s_waitcnt lgkmcnt(0)
	s_add_u32 s20, s0, 8
	v_mov_b32_e32 v13, v4
	v_mov_b32_e32 v8, v2
	s_addc_u32 s21, s1, 0
	s_mov_b64 s[22:23], 1
	v_mov_b32_e32 v12, v3
	v_mov_b32_e32 v7, v1
.LBB0_2:                                ; =>This Inner Loop Header: Depth=1
	s_load_dwordx2 s[24:25], s[20:21], 0x0
                                        ; implicit-def: $vgpr28_vgpr29
	s_waitcnt lgkmcnt(0)
	v_or_b32_e32 v6, s25, v8
	v_cmp_ne_u64_e32 vcc, 0, v[5:6]
	s_and_saveexec_b64 s[0:1], vcc
	s_xor_b64 s[26:27], exec, s[0:1]
	s_cbranch_execz .LBB0_4
; %bb.3:                                ;   in Loop: Header=BB0_2 Depth=1
	v_cvt_f32_u32_e32 v2, s24
	v_cvt_f32_u32_e32 v6, s25
	s_sub_u32 s0, 0, s24
	s_subb_u32 s1, 0, s25
	v_mac_f32_e32 v2, 0x4f800000, v6
	v_rcp_f32_e32 v2, v2
	v_mul_f32_e32 v2, 0x5f7ffffc, v2
	v_mul_f32_e32 v6, 0x2f800000, v2
	v_trunc_f32_e32 v6, v6
	v_mac_f32_e32 v2, 0xcf800000, v6
	v_cvt_u32_f32_e32 v6, v6
	v_cvt_u32_f32_e32 v2, v2
	v_mul_lo_u32 v9, s0, v6
	v_mul_hi_u32 v10, s0, v2
	v_mul_lo_u32 v14, s1, v2
	v_mul_lo_u32 v11, s0, v2
	v_add_u32_e32 v9, v10, v9
	v_add_u32_e32 v9, v9, v14
	v_mul_hi_u32 v10, v2, v11
	v_mul_lo_u32 v14, v2, v9
	v_mul_hi_u32 v16, v2, v9
	v_mul_hi_u32 v15, v6, v11
	v_mul_lo_u32 v11, v6, v11
	v_mul_hi_u32 v17, v6, v9
	v_add_co_u32_e32 v10, vcc, v10, v14
	v_addc_co_u32_e32 v14, vcc, 0, v16, vcc
	v_mul_lo_u32 v9, v6, v9
	v_add_co_u32_e32 v10, vcc, v10, v11
	v_addc_co_u32_e32 v10, vcc, v14, v15, vcc
	v_addc_co_u32_e32 v11, vcc, 0, v17, vcc
	v_add_co_u32_e32 v9, vcc, v10, v9
	v_addc_co_u32_e32 v10, vcc, 0, v11, vcc
	v_add_co_u32_e32 v2, vcc, v2, v9
	v_addc_co_u32_e32 v6, vcc, v6, v10, vcc
	v_mul_lo_u32 v9, s0, v6
	v_mul_hi_u32 v10, s0, v2
	v_mul_lo_u32 v11, s1, v2
	v_mul_lo_u32 v14, s0, v2
	v_add_u32_e32 v9, v10, v9
	v_add_u32_e32 v9, v9, v11
	v_mul_lo_u32 v15, v2, v9
	v_mul_hi_u32 v16, v2, v14
	v_mul_hi_u32 v17, v2, v9
	;; [unrolled: 1-line block ×3, first 2 shown]
	v_mul_lo_u32 v14, v6, v14
	v_mul_hi_u32 v10, v6, v9
	v_add_co_u32_e32 v15, vcc, v16, v15
	v_addc_co_u32_e32 v16, vcc, 0, v17, vcc
	v_mul_lo_u32 v9, v6, v9
	v_add_co_u32_e32 v14, vcc, v15, v14
	v_addc_co_u32_e32 v11, vcc, v16, v11, vcc
	v_addc_co_u32_e32 v10, vcc, 0, v10, vcc
	v_add_co_u32_e32 v9, vcc, v11, v9
	v_addc_co_u32_e32 v10, vcc, 0, v10, vcc
	v_add_co_u32_e32 v2, vcc, v2, v9
	v_addc_co_u32_e32 v6, vcc, v6, v10, vcc
	v_mad_u64_u32 v[9:10], s[0:1], v7, v6, 0
	v_mul_hi_u32 v11, v7, v2
	v_mad_u64_u32 v[14:15], s[0:1], v8, v6, 0
	v_add_co_u32_e32 v11, vcc, v11, v9
	v_addc_co_u32_e32 v16, vcc, 0, v10, vcc
	v_mad_u64_u32 v[9:10], s[0:1], v8, v2, 0
	v_add_co_u32_e32 v2, vcc, v11, v9
	v_addc_co_u32_e32 v2, vcc, v16, v10, vcc
	v_addc_co_u32_e32 v6, vcc, 0, v15, vcc
	v_add_co_u32_e32 v2, vcc, v2, v14
	v_addc_co_u32_e32 v6, vcc, 0, v6, vcc
	v_mul_lo_u32 v11, s25, v2
	v_mul_lo_u32 v14, s24, v6
	v_mad_u64_u32 v[9:10], s[0:1], s24, v2, 0
	v_add3_u32 v10, v10, v14, v11
	v_sub_u32_e32 v11, v8, v10
	v_mov_b32_e32 v14, s25
	v_sub_co_u32_e32 v9, vcc, v7, v9
	v_subb_co_u32_e64 v11, s[0:1], v11, v14, vcc
	v_subrev_co_u32_e64 v14, s[0:1], s24, v9
	v_subbrev_co_u32_e64 v11, s[0:1], 0, v11, s[0:1]
	v_cmp_le_u32_e64 s[0:1], s25, v11
	v_cndmask_b32_e64 v15, 0, -1, s[0:1]
	v_cmp_le_u32_e64 s[0:1], s24, v14
	v_cndmask_b32_e64 v14, 0, -1, s[0:1]
	v_cmp_eq_u32_e64 s[0:1], s25, v11
	v_cndmask_b32_e64 v11, v15, v14, s[0:1]
	v_add_co_u32_e64 v14, s[0:1], 2, v2
	v_addc_co_u32_e64 v15, s[0:1], 0, v6, s[0:1]
	v_add_co_u32_e64 v16, s[0:1], 1, v2
	v_addc_co_u32_e64 v17, s[0:1], 0, v6, s[0:1]
	v_subb_co_u32_e32 v10, vcc, v8, v10, vcc
	v_cmp_ne_u32_e64 s[0:1], 0, v11
	v_cmp_le_u32_e32 vcc, s25, v10
	v_cndmask_b32_e64 v11, v17, v15, s[0:1]
	v_cndmask_b32_e64 v15, 0, -1, vcc
	v_cmp_le_u32_e32 vcc, s24, v9
	v_cndmask_b32_e64 v9, 0, -1, vcc
	v_cmp_eq_u32_e32 vcc, s25, v10
	v_cndmask_b32_e32 v9, v15, v9, vcc
	v_cmp_ne_u32_e32 vcc, 0, v9
	v_cndmask_b32_e32 v29, v6, v11, vcc
	v_cndmask_b32_e64 v6, v16, v14, s[0:1]
	v_cndmask_b32_e32 v28, v2, v6, vcc
.LBB0_4:                                ;   in Loop: Header=BB0_2 Depth=1
	s_andn2_saveexec_b64 s[0:1], s[26:27]
	s_cbranch_execz .LBB0_6
; %bb.5:                                ;   in Loop: Header=BB0_2 Depth=1
	v_cvt_f32_u32_e32 v2, s24
	s_sub_i32 s26, 0, s24
	v_mov_b32_e32 v29, v5
	v_rcp_iflag_f32_e32 v2, v2
	v_mul_f32_e32 v2, 0x4f7ffffe, v2
	v_cvt_u32_f32_e32 v2, v2
	v_mul_lo_u32 v6, s26, v2
	v_mul_hi_u32 v6, v2, v6
	v_add_u32_e32 v2, v2, v6
	v_mul_hi_u32 v2, v7, v2
	v_mul_lo_u32 v6, v2, s24
	v_add_u32_e32 v9, 1, v2
	v_sub_u32_e32 v6, v7, v6
	v_subrev_u32_e32 v10, s24, v6
	v_cmp_le_u32_e32 vcc, s24, v6
	v_cndmask_b32_e32 v6, v6, v10, vcc
	v_cndmask_b32_e32 v2, v2, v9, vcc
	v_add_u32_e32 v9, 1, v2
	v_cmp_le_u32_e32 vcc, s24, v6
	v_cndmask_b32_e32 v28, v2, v9, vcc
.LBB0_6:                                ;   in Loop: Header=BB0_2 Depth=1
	s_or_b64 exec, exec, s[0:1]
	v_mul_lo_u32 v2, v29, s24
	v_mul_lo_u32 v6, v28, s25
	v_mad_u64_u32 v[9:10], s[0:1], v28, s24, 0
	s_load_dwordx2 s[0:1], s[6:7], 0x0
	s_load_dwordx2 s[24:25], s[2:3], 0x0
	v_add3_u32 v2, v10, v6, v2
	v_sub_co_u32_e32 v6, vcc, v7, v9
	v_subb_co_u32_e32 v2, vcc, v8, v2, vcc
	s_waitcnt lgkmcnt(0)
	v_mul_lo_u32 v7, s0, v2
	v_mul_lo_u32 v8, s1, v6
	v_mad_u64_u32 v[3:4], s[0:1], s0, v6, v[3:4]
	s_add_u32 s22, s22, 1
	s_addc_u32 s23, s23, 0
	s_add_u32 s2, s2, 8
	v_mul_lo_u32 v2, s24, v2
	v_mul_lo_u32 v9, s25, v6
	v_mad_u64_u32 v[12:13], s[0:1], s24, v6, v[12:13]
	v_add3_u32 v4, v8, v4, v7
	s_addc_u32 s3, s3, 0
	v_mov_b32_e32 v6, s14
	s_add_u32 s6, s6, 8
	v_mov_b32_e32 v7, s15
	s_addc_u32 s7, s7, 0
	v_cmp_ge_u64_e32 vcc, s[22:23], v[6:7]
	s_add_u32 s20, s20, 8
	v_add3_u32 v13, v9, v13, v2
	s_addc_u32 s21, s21, 0
	s_cbranch_vccnz .LBB0_8
; %bb.7:                                ;   in Loop: Header=BB0_2 Depth=1
	v_mov_b32_e32 v7, v28
	v_mov_b32_e32 v8, v29
	s_branch .LBB0_2
.LBB0_8:
	s_load_dwordx2 s[0:1], s[4:5], 0x28
	s_lshl_b64 s[6:7], s[14:15], 3
	s_add_u32 s2, s18, s6
	s_addc_u32 s3, s19, s7
                                        ; implicit-def: $vgpr14
	s_waitcnt lgkmcnt(0)
	v_cmp_gt_u64_e32 vcc, s[0:1], v[28:29]
	v_cmp_le_u64_e64 s[0:1], s[0:1], v[28:29]
	s_and_saveexec_b64 s[4:5], s[0:1]
	s_xor_b64 s[0:1], exec, s[4:5]
; %bb.9:
	s_mov_b32 s4, 0x13b13b14
	v_mul_hi_u32 v2, v0, s4
                                        ; implicit-def: $vgpr3_vgpr4
	v_mul_u32_u24_e32 v2, 13, v2
	v_sub_u32_e32 v14, v0, v2
                                        ; implicit-def: $vgpr0
; %bb.10:
	s_or_saveexec_b64 s[4:5], s[0:1]
                                        ; implicit-def: $vgpr6
                                        ; implicit-def: $vgpr8
                                        ; implicit-def: $vgpr9
                                        ; implicit-def: $vgpr2
                                        ; implicit-def: $vgpr5
                                        ; implicit-def: $vgpr7
	s_xor_b64 exec, exec, s[4:5]
	s_cbranch_execz .LBB0_12
; %bb.11:
	s_add_u32 s0, s16, s6
	s_addc_u32 s1, s17, s7
	s_load_dwordx2 s[0:1], s[0:1], 0x0
	s_mov_b32 s6, 0x13b13b14
	v_mul_hi_u32 v2, v0, s6
	s_waitcnt lgkmcnt(0)
	v_mul_lo_u32 v7, s1, v28
	v_mul_lo_u32 v8, s0, v29
	v_mad_u64_u32 v[5:6], s[0:1], s0, v28, 0
	v_mul_u32_u24_e32 v2, 13, v2
	v_sub_u32_e32 v14, v0, v2
	v_add3_u32 v6, v6, v8, v7
	v_lshlrev_b64 v[5:6], 2, v[5:6]
	v_mov_b32_e32 v0, s9
	v_add_co_u32_e64 v5, s[0:1], s8, v5
	v_lshlrev_b64 v[2:3], 2, v[3:4]
	v_addc_co_u32_e64 v0, s[0:1], v0, v6, s[0:1]
	v_add_co_u32_e64 v2, s[0:1], v5, v2
	v_addc_co_u32_e64 v0, s[0:1], v0, v3, s[0:1]
	v_lshlrev_b32_e32 v3, 2, v14
	v_add_co_u32_e64 v3, s[0:1], v2, v3
	v_addc_co_u32_e64 v4, s[0:1], 0, v0, s[0:1]
	global_load_dword v6, v[3:4], off
	global_load_dword v2, v[3:4], off offset:52
	global_load_dword v8, v[3:4], off offset:104
	global_load_dword v5, v[3:4], off offset:156
	global_load_dword v9, v[3:4], off offset:208
	global_load_dword v7, v[3:4], off offset:260
.LBB0_12:
	s_or_b64 exec, exec, s[4:5]
	s_mov_b32 s0, 0xaf286bcb
	v_mul_hi_u32 v0, v1, s0
	s_waitcnt vmcnt(1)
	v_pk_add_f16 v11, v8, v9
	v_pk_add_f16 v3, v6, v8
	v_pk_fma_f16 v6, v11, 0.5, v6 op_sel_hi:[1,0,1] neg_lo:[1,0,0] neg_hi:[1,0,0]
	v_sub_u32_e32 v10, v1, v0
	v_lshrrev_b32_e32 v10, 1, v10
	s_waitcnt vmcnt(0)
	v_pk_add_f16 v11, v5, v7
	v_pk_add_f16 v4, v2, v5
	v_add_u32_e32 v0, v10, v0
	s_movk_i32 s0, 0x3aee
	v_pk_fma_f16 v2, v11, 0.5, v2 op_sel_hi:[1,0,1] neg_lo:[1,0,0] neg_hi:[1,0,0]
	v_pk_add_f16 v5, v5, v7 neg_lo:[0,1] neg_hi:[0,1]
	v_lshrrev_b32_e32 v0, 4, v0
	v_pk_add_f16 v4, v4, v7
	v_pk_fma_f16 v7, v5, s0, v2 op_sel:[0,0,1] op_sel_hi:[1,0,0]
	v_mov_b32_e32 v11, 0x3800
	v_mul_lo_u32 v0, v0, 19
	v_pk_add_f16 v8, v8, v9 neg_lo:[0,1] neg_hi:[0,1]
	v_pk_fma_f16 v2, v5, s0, v2 op_sel:[0,0,1] op_sel_hi:[1,0,0] neg_lo:[1,0,0] neg_hi:[1,0,0]
	v_mul_f16_sdwa v11, v7, v11 dst_sel:DWORD dst_unused:UNUSED_PAD src0_sel:WORD_1 src1_sel:DWORD
	v_pk_mul_f16 v8, v8, s0 op_sel_hi:[1,0]
	s_mov_b32 s1, 0xffff
	v_fma_f16 v11, v2, s0, v11
	s_mov_b32 s0, 0xbaee
	v_bfi_b32 v5, s1, v7, v2
	v_mul_f16_sdwa v7, v7, s0 dst_sel:DWORD dst_unused:UNUSED_PAD src0_sel:WORD_1 src1_sel:DWORD
	s_load_dwordx2 s[2:3], s[2:3], 0x0
	v_fma_f16 v2, v2, 0.5, v7
	s_mov_b32 s0, 0xbaee3aee
	v_pk_mul_f16 v7, v5, 0.5 op_sel_hi:[1,0]
	v_pk_add_f16 v3, v3, v9
	v_sub_u32_e32 v0, v1, v0
	v_pk_add_f16 v9, v8, v6 op_sel:[1,0] op_sel_hi:[0,1]
	v_pk_add_f16 v6, v6, v8 op_sel:[0,1] op_sel_hi:[1,0] neg_lo:[0,1] neg_hi:[0,1]
	v_pk_fma_f16 v5, v5, s0, v7 op_sel:[0,0,1] op_sel_hi:[1,1,0] neg_lo:[0,0,1] neg_hi:[0,0,1]
	v_mul_u32_u24_e32 v1, 0x4e, v0
	v_mul_u32_u24_e32 v0, 6, v14
	v_bfi_b32 v8, s1, v6, v9
	v_add_f16_sdwa v31, v6, v2 dst_sel:DWORD dst_unused:UNUSED_PAD src0_sel:WORD_1 src1_sel:DWORD
	v_pack_b32_f16 v2, v2, v5
	v_lshl_add_u32 v0, v0, 2, 0
	v_add_f16_e32 v16, v9, v11
	v_pk_add_f16 v17, v8, v5
	v_sub_f16_e32 v19, v9, v11
	v_sub_f16_sdwa v32, v9, v5 dst_sel:DWORD dst_unused:UNUSED_PAD src0_sel:WORD_1 src1_sel:WORD_1
	v_pk_add_f16 v18, v3, v4 neg_lo:[0,1] neg_hi:[0,1]
	v_pk_add_f16 v37, v6, v2 op_sel:[1,0] op_sel_hi:[0,1] neg_lo:[0,1] neg_hi:[0,1]
	v_pk_add_f16 v30, v3, v4
	v_lshl_add_u32 v10, v1, 2, v0
	v_pack_b32_f16 v7, v16, v31
	v_lshrrev_b32_e32 v33, 16, v17
	v_lshrrev_b32_e32 v36, 16, v18
	v_alignbit_b32 v2, v32, v37, 16
	v_pack_b32_f16 v3, v19, v37
	v_cmp_gt_u32_e64 s[0:1], 6, v14
	v_lshrrev_b32_e32 v22, 16, v37
	ds_write2_b32 v10, v30, v7 offset1:1
	ds_write2_b32 v10, v17, v18 offset0:2 offset1:3
	ds_write2_b32 v10, v3, v2 offset0:4 offset1:5
	s_waitcnt lgkmcnt(0)
	s_barrier
	s_waitcnt lgkmcnt(0)
                                        ; implicit-def: $vgpr41
                                        ; implicit-def: $vgpr40
                                        ; implicit-def: $vgpr38
                                        ; implicit-def: $vgpr39
                                        ; implicit-def: $vgpr35
                                        ; implicit-def: $vgpr34
                                        ; implicit-def: $vgpr42
                                        ; implicit-def: $vgpr27
                                        ; implicit-def: $vgpr25
                                        ; implicit-def: $vgpr21
	s_and_saveexec_b64 s[4:5], s[0:1]
	s_cbranch_execz .LBB0_14
; %bb.13:
	v_lshlrev_b32_e32 v1, 2, v1
	v_lshlrev_b32_e32 v2, 2, v14
	v_add3_u32 v2, 0, v1, v2
	ds_read_b32 v30, v2
	v_mul_i32_i24_e32 v2, 0xffffffec, v14
	v_add3_u32 v0, v0, v2, v1
	ds_read2_b32 v[16:17], v0 offset0:6 offset1:12
	ds_read2_b32 v[20:21], v0 offset0:42 offset1:48
	;; [unrolled: 1-line block ×6, first 2 shown]
	s_waitcnt lgkmcnt(4)
	v_lshrrev_b32_e32 v34, 16, v20
	v_lshrrev_b32_e32 v35, 16, v21
	s_waitcnt lgkmcnt(2)
	v_lshrrev_b32_e32 v39, 16, v24
	v_lshrrev_b32_e32 v38, 16, v25
	;; [unrolled: 3-line block ×3, first 2 shown]
	v_lshrrev_b32_e32 v31, 16, v16
	v_lshrrev_b32_e32 v33, 16, v17
	;; [unrolled: 1-line block ×6, first 2 shown]
.LBB0_14:
	s_or_b64 exec, exec, s[4:5]
	v_cmp_gt_u32_e64 s[0:1], 6, v14
	s_and_b64 s[0:1], vcc, s[0:1]
	s_and_saveexec_b64 s[4:5], s[0:1]
	s_cbranch_execz .LBB0_16
; %bb.15:
	s_movk_i32 s0, 0xab
	v_mul_lo_u16_sdwa v0, v14, s0 dst_sel:DWORD dst_unused:UNUSED_PAD src0_sel:BYTE_0 src1_sel:DWORD
	v_lshrrev_b16_e32 v0, 10, v0
	v_mul_lo_u16_e32 v0, 6, v0
	v_sub_u16_e32 v0, v14, v0
	v_mul_lo_u16_e32 v0, 12, v0
	v_and_b32_e32 v0, 0xfc, v0
	v_lshlrev_b32_e32 v15, 2, v0
	global_load_dwordx4 v[0:3], v15, s[12:13] offset:32
	global_load_dwordx4 v[8:11], v15, s[12:13]
	global_load_dwordx4 v[4:7], v15, s[12:13] offset:16
	v_mul_lo_u32 v43, s3, v28
	v_mul_lo_u32 v44, s2, v29
	v_mad_u64_u32 v[28:29], s[0:1], s2, v28, 0
	v_mov_b32_e32 v45, s11
	v_lshlrev_b64 v[12:13], 2, v[12:13]
	v_add3_u32 v29, v29, v44, v43
	v_lshlrev_b64 v[28:29], 2, v[28:29]
	v_mov_b32_e32 v15, 0
	v_add_co_u32_e32 v28, vcc, s10, v28
	v_addc_co_u32_e32 v29, vcc, v45, v29, vcc
	v_lshlrev_b64 v[14:15], 2, v[14:15]
	v_add_co_u32_e32 v12, vcc, v28, v12
	v_addc_co_u32_e32 v13, vcc, v29, v13, vcc
	v_add_co_u32_e32 v12, vcc, v12, v14
	v_addc_co_u32_e32 v13, vcc, v13, v15, vcc
	s_mov_b32 s0, 0xbbc4
	s_movk_i32 s1, 0x3b15
	s_mov_b32 s2, 0xb9fd
	s_movk_i32 s3, 0x388b
	;; [unrolled: 2-line block ×3, first 2 shown]
	s_waitcnt vmcnt(2)
	v_mul_f16_sdwa v14, v41, v3 dst_sel:DWORD dst_unused:UNUSED_PAD src0_sel:DWORD src1_sel:WORD_1
	s_waitcnt vmcnt(1)
	v_mul_f16_sdwa v47, v31, v8 dst_sel:DWORD dst_unused:UNUSED_PAD src0_sel:DWORD src1_sel:WORD_1
	v_mul_f16_sdwa v15, v40, v2 dst_sel:DWORD dst_unused:UNUSED_PAD src0_sel:DWORD src1_sel:WORD_1
	;; [unrolled: 1-line block ×5, first 2 shown]
	v_fma_f16 v14, v27, v3, -v14
	v_fma_f16 v16, v16, v8, -v47
	v_mul_f16_sdwa v29, v26, v2 dst_sel:DWORD dst_unused:UNUSED_PAD src0_sel:DWORD src1_sel:WORD_1
	v_mul_f16_sdwa v50, v17, v9 dst_sel:DWORD dst_unused:UNUSED_PAD src0_sel:DWORD src1_sel:WORD_1
	s_waitcnt vmcnt(0)
	v_mul_f16_sdwa v59, v32, v4 dst_sel:DWORD dst_unused:UNUSED_PAD src0_sel:DWORD src1_sel:WORD_1
	v_mul_f16_sdwa v61, v22, v4 dst_sel:DWORD dst_unused:UNUSED_PAD src0_sel:DWORD src1_sel:WORD_1
	v_fma_f16 v15, v26, v2, -v15
	v_fma_f16 v3, v41, v3, v28
	v_fma_f16 v17, v17, v9, -v48
	v_fma_f16 v8, v31, v8, v49
	v_sub_f16_e32 v26, v16, v14
	v_mul_f16_sdwa v43, v38, v1 dst_sel:DWORD dst_unused:UNUSED_PAD src0_sel:DWORD src1_sel:WORD_1
	v_mul_f16_sdwa v51, v36, v10 dst_sel:DWORD dst_unused:UNUSED_PAD src0_sel:DWORD src1_sel:WORD_1
	;; [unrolled: 1-line block ×4, first 2 shown]
	v_fma_f16 v2, v40, v2, v29
	v_fma_f16 v9, v33, v9, v50
	v_fma_f16 v22, v22, v4, -v59
	v_fma_f16 v4, v32, v4, v61
	v_add_f16_e32 v27, v8, v3
	v_sub_f16_e32 v28, v17, v15
	v_mul_f16_e32 v32, 0xb3a8, v26
	v_mul_f16_sdwa v45, v25, v1 dst_sel:DWORD dst_unused:UNUSED_PAD src0_sel:DWORD src1_sel:WORD_1
	v_mul_f16_sdwa v53, v18, v10 dst_sel:DWORD dst_unused:UNUSED_PAD src0_sel:DWORD src1_sel:WORD_1
	;; [unrolled: 1-line block ×4, first 2 shown]
	v_fma_f16 v25, v25, v1, -v43
	v_fma_f16 v18, v18, v10, -v51
	;; [unrolled: 1-line block ×3, first 2 shown]
	v_fma_f16 v6, v34, v6, v58
	v_add_f16_e32 v29, v9, v2
	v_mul_f16_e32 v33, 0x3770, v28
	v_fma_f16 v34, v27, s0, v32
	v_fma_f16 v1, v38, v1, v45
	;; [unrolled: 1-line block ×3, first 2 shown]
	v_fma_f16 v21, v21, v7, -v55
	v_fma_f16 v7, v35, v7, v57
	v_sub_f16_e32 v31, v18, v25
	v_fma_f16 v35, v29, s1, v33
	v_add_f16_sdwa v34, v30, v34 dst_sel:DWORD dst_unused:UNUSED_PAD src0_sel:WORD_1 src1_sel:DWORD
	v_mul_f16_sdwa v44, v39, v0 dst_sel:DWORD dst_unused:UNUSED_PAD src0_sel:DWORD src1_sel:WORD_1
	v_mul_f16_sdwa v52, v37, v11 dst_sel:DWORD dst_unused:UNUSED_PAD src0_sel:DWORD src1_sel:WORD_1
	;; [unrolled: 1-line block ×3, first 2 shown]
	v_add_f16_e32 v34, v34, v35
	v_mul_f16_e32 v35, 0xb94e, v31
	v_add_f16_e32 v36, v10, v1
	v_mul_f16_sdwa v46, v24, v0 dst_sel:DWORD dst_unused:UNUSED_PAD src0_sel:DWORD src1_sel:WORD_1
	v_fma_f16 v24, v24, v0, -v44
	v_fma_f16 v19, v19, v11, -v52
	v_fma_f16 v11, v37, v11, v54
	v_fma_f16 v37, v36, s2, v35
	v_fma_f16 v0, v39, v0, v46
	v_add_f16_e32 v34, v34, v37
	v_sub_f16_e32 v37, v19, v24
	v_mul_f16_e32 v38, 0x3a95, v37
	v_add_f16_e32 v39, v11, v0
	v_fma_f16 v40, v39, s3, v38
	v_mul_f16_sdwa v60, v42, v5 dst_sel:DWORD dst_unused:UNUSED_PAD src0_sel:DWORD src1_sel:WORD_1
	v_mul_f16_sdwa v62, v23, v5 dst_sel:DWORD dst_unused:UNUSED_PAD src0_sel:DWORD src1_sel:WORD_1
	v_add_f16_e32 v34, v34, v40
	v_sub_f16_e32 v40, v22, v21
	v_fma_f16 v23, v23, v5, -v60
	v_fma_f16 v5, v42, v5, v62
	v_mul_f16_e32 v41, 0xbb7b, v40
	v_add_f16_e32 v42, v4, v7
	v_fma_f16 v43, v42, s4, v41
	v_add_f16_e32 v34, v34, v43
	v_sub_f16_e32 v43, v23, v20
	v_mul_f16_e32 v44, 0x3bf1, v43
	v_add_f16_e32 v45, v5, v6
	v_fma_f16 v46, v45, s5, v44
	v_sub_f16_e32 v47, v8, v3
	v_add_f16_e32 v34, v34, v46
	v_add_f16_e32 v46, v16, v14
	v_mul_f16_e32 v48, 0xb3a8, v47
	v_sub_f16_e32 v51, v9, v2
	v_fma_f16 v49, v46, s0, -v48
	v_add_f16_e32 v50, v17, v15
	v_mul_f16_e32 v52, 0x3770, v51
	v_add_f16_e32 v49, v30, v49
	v_fma_f16 v53, v50, s1, -v52
	v_sub_f16_e32 v54, v10, v1
	v_add_f16_e32 v49, v49, v53
	v_add_f16_e32 v53, v18, v25
	v_mul_f16_e32 v55, 0xb94e, v54
	v_fma_f16 v56, v53, s2, -v55
	v_sub_f16_e32 v57, v11, v0
	v_add_f16_e32 v49, v49, v56
	v_add_f16_e32 v56, v19, v24
	v_mul_f16_e32 v58, 0x3a95, v57
	;; [unrolled: 5-line block ×4, first 2 shown]
	v_fma_f16 v65, v62, s5, -v64
	v_add_f16_e32 v49, v49, v65
	v_mul_f16_e32 v65, 0xb94e, v26
	v_fma_f16 v66, v27, s2, v65
	v_mul_f16_e32 v67, 0x3bf1, v28
	v_add_f16_sdwa v66, v30, v66 dst_sel:DWORD dst_unused:UNUSED_PAD src0_sel:WORD_1 src1_sel:DWORD
	v_fma_f16 v68, v29, s5, v67
	v_add_f16_e32 v66, v66, v68
	v_mul_f16_e32 v68, 0xba95, v31
	v_fma_f16 v69, v36, s3, v68
	v_add_f16_e32 v66, v66, v69
	v_mul_f16_e32 v69, 0x33a8, v37
	;; [unrolled: 3-line block ×5, first 2 shown]
	v_fma_f16 v73, v46, s2, -v72
	v_mul_f16_e32 v74, 0x3bf1, v51
	v_add_f16_e32 v73, v30, v73
	v_fma_f16 v75, v50, s5, -v74
	v_add_f16_e32 v73, v73, v75
	v_mul_f16_e32 v75, 0xba95, v54
	v_fma_f16 v76, v53, s3, -v75
	v_add_f16_e32 v73, v73, v76
	v_mul_f16_e32 v76, 0x33a8, v57
	;; [unrolled: 3-line block ×5, first 2 shown]
	v_fma_f16 v80, v27, s4, v79
	v_mul_f16_e32 v81, 0x394e, v28
	v_add_f16_sdwa v80, v30, v80 dst_sel:DWORD dst_unused:UNUSED_PAD src0_sel:WORD_1 src1_sel:DWORD
	v_fma_f16 v82, v29, s2, v81
	v_add_f16_e32 v80, v80, v82
	v_mul_f16_e32 v82, 0x3770, v31
	v_fma_f16 v83, v36, s1, v82
	v_add_f16_e32 v80, v80, v83
	v_mul_f16_e32 v83, 0xbbf1, v37
	;; [unrolled: 3-line block ×3, first 2 shown]
	v_fma_f16 v85, v42, s0, v84
	v_add_f16_sdwa v8, v30, v8 dst_sel:DWORD dst_unused:UNUSED_PAD src0_sel:WORD_1 src1_sel:DWORD
	v_add_f16_e32 v80, v80, v85
	v_mul_f16_e32 v85, 0x3a95, v43
	v_add_f16_e32 v8, v8, v9
	v_fma_f16 v86, v45, s3, v85
	v_add_f16_e32 v8, v8, v10
	v_add_f16_e32 v80, v80, v86
	v_mul_f16_e32 v86, 0xbb7b, v47
	v_add_f16_e32 v8, v8, v11
	v_fma_f16 v87, v46, s4, -v86
	v_mul_f16_e32 v88, 0x394e, v51
	v_add_f16_e32 v4, v8, v4
	v_add_f16_e32 v87, v30, v87
	v_fma_f16 v89, v50, s2, -v88
	v_add_f16_e32 v4, v4, v5
	v_add_f16_e32 v87, v87, v89
	v_mul_f16_e32 v89, 0x3770, v54
	v_add_f16_e32 v4, v4, v6
	v_fma_f16 v90, v53, s1, -v89
	v_add_f16_e32 v4, v7, v4
	v_add_f16_e32 v87, v87, v90
	v_mul_f16_e32 v90, 0xbbf1, v57
	v_add_f16_e32 v0, v0, v4
	v_fma_f16 v91, v56, s5, -v90
	v_add_f16_e32 v0, v1, v0
	v_fma_f16 v1, v27, s0, -v32
	v_add_f16_e32 v87, v87, v91
	v_mul_f16_e32 v91, 0x33a8, v60
	v_add_f16_e32 v0, v2, v0
	v_add_f16_sdwa v1, v30, v1 dst_sel:DWORD dst_unused:UNUSED_PAD src0_sel:WORD_1 src1_sel:DWORD
	v_fma_f16 v2, v29, s1, -v33
	v_fma_f16 v92, v59, s0, -v91
	v_add_f16_e32 v1, v1, v2
	v_fma_f16 v2, v36, s2, -v35
	v_add_f16_e32 v87, v87, v92
	v_mul_f16_e32 v92, 0x3a95, v63
	v_add_f16_e32 v1, v1, v2
	v_fma_f16 v2, v39, s3, -v38
	v_fma_f16 v93, v62, s3, -v92
	v_add_f16_e32 v1, v1, v2
	v_fma_f16 v2, v42, s4, -v41
	v_add_f16_e32 v87, v87, v93
	v_mul_f16_e32 v93, 0xbbf1, v26
	v_add_f16_e32 v1, v1, v2
	v_fma_f16 v2, v45, s5, -v44
	v_fma_f16 v94, v27, s5, v93
	v_mul_f16_e32 v95, 0xb3a8, v28
	v_add_f16_e32 v1, v1, v2
	v_fma_f16 v2, v46, s0, v48
	v_add_f16_sdwa v94, v30, v94 dst_sel:DWORD dst_unused:UNUSED_PAD src0_sel:WORD_1 src1_sel:DWORD
	v_fma_f16 v96, v29, s0, v95
	v_add_f16_e32 v0, v3, v0
	v_add_f16_e32 v2, v30, v2
	v_fma_f16 v3, v50, s1, v52
	v_add_f16_e32 v94, v94, v96
	v_mul_f16_e32 v96, 0x3b7b, v31
	v_add_f16_e32 v2, v2, v3
	v_fma_f16 v3, v53, s2, v55
	v_fma_f16 v97, v36, s4, v96
	v_add_f16_e32 v2, v2, v3
	v_fma_f16 v3, v56, s3, v58
	v_add_f16_e32 v94, v94, v97
	v_mul_f16_e32 v97, 0x3770, v37
	v_add_f16_e32 v2, v2, v3
	v_fma_f16 v3, v59, s4, v61
	v_fma_f16 v98, v39, s1, v97
	v_add_f16_e32 v2, v2, v3
	v_fma_f16 v3, v62, s5, v64
	v_add_f16_e32 v94, v94, v98
	v_mul_f16_e32 v98, 0xba95, v40
	v_add_f16_e32 v2, v2, v3
	v_fma_f16 v3, v27, s2, -v65
	v_fma_f16 v99, v42, s3, v98
	v_add_f16_sdwa v3, v30, v3 dst_sel:DWORD dst_unused:UNUSED_PAD src0_sel:WORD_1 src1_sel:DWORD
	v_fma_f16 v4, v29, s5, -v67
	v_add_f16_e32 v94, v94, v99
	v_mul_f16_e32 v99, 0xb94e, v43
	v_add_f16_e32 v3, v3, v4
	v_fma_f16 v4, v36, s3, -v68
	v_fma_f16 v100, v45, s2, v99
	v_add_f16_e32 v3, v3, v4
	v_fma_f16 v4, v39, s0, -v69
	v_add_f16_e32 v94, v94, v100
	v_mul_f16_e32 v100, 0xbbf1, v47
	v_add_f16_e32 v3, v3, v4
	v_fma_f16 v4, v42, s1, -v70
	v_fma_f16 v101, v46, s5, -v100
	v_mul_f16_e32 v102, 0xb3a8, v51
	v_add_f16_e32 v3, v3, v4
	v_fma_f16 v4, v45, s4, -v71
	v_add_f16_e32 v101, v30, v101
	v_fma_f16 v103, v50, s0, -v102
	v_add_f16_e32 v3, v3, v4
	v_fma_f16 v4, v46, s2, v72
	v_add_f16_e32 v101, v101, v103
	v_mul_f16_e32 v103, 0x3b7b, v54
	v_add_f16_e32 v4, v30, v4
	v_fma_f16 v5, v50, s5, v74
	v_fma_f16 v104, v53, s4, -v103
	v_add_f16_e32 v4, v4, v5
	v_fma_f16 v5, v53, s3, v75
	v_add_f16_e32 v101, v101, v104
	v_mul_f16_e32 v104, 0x3770, v57
	v_add_f16_e32 v4, v4, v5
	v_fma_f16 v5, v56, s0, v76
	;; [unrolled: 7-line block ×3, first 2 shown]
	v_fma_f16 v106, v59, s3, -v105
	v_add_f16_e32 v4, v4, v5
	v_fma_f16 v5, v27, s4, -v79
	v_add_f16_e32 v101, v101, v106
	v_mul_f16_e32 v106, 0xb94e, v63
	v_add_f16_sdwa v5, v30, v5 dst_sel:DWORD dst_unused:UNUSED_PAD src0_sel:WORD_1 src1_sel:DWORD
	v_fma_f16 v6, v29, s2, -v81
	v_fma_f16 v107, v62, s2, -v106
	v_add_f16_e32 v5, v5, v6
	v_fma_f16 v6, v36, s1, -v82
	v_add_f16_e32 v101, v101, v107
	v_mul_f16_e32 v107, 0xba95, v26
	v_add_f16_e32 v5, v5, v6
	v_fma_f16 v6, v39, s5, -v83
	v_fma_f16 v108, v27, s3, v107
	v_mul_f16_e32 v109, 0xbb7b, v28
	v_add_f16_e32 v5, v5, v6
	v_fma_f16 v6, v42, s0, -v84
	v_add_f16_sdwa v108, v30, v108 dst_sel:DWORD dst_unused:UNUSED_PAD src0_sel:WORD_1 src1_sel:DWORD
	v_fma_f16 v110, v29, s4, v109
	v_add_f16_e32 v5, v5, v6
	v_fma_f16 v6, v45, s3, -v85
	v_add_f16_e32 v108, v108, v110
	v_mul_f16_e32 v110, 0xb3a8, v31
	v_add_f16_e32 v5, v5, v6
	v_fma_f16 v6, v46, s4, v86
	v_fma_f16 v111, v36, s0, v110
	v_add_f16_e32 v6, v30, v6
	v_fma_f16 v7, v50, s2, v88
	v_add_f16_e32 v108, v108, v111
	v_mul_f16_e32 v111, 0x394e, v37
	v_add_f16_e32 v6, v6, v7
	v_fma_f16 v7, v53, s1, v89
	v_fma_f16 v112, v39, s2, v111
	v_add_f16_e32 v6, v6, v7
	v_fma_f16 v7, v56, s5, v90
	v_add_f16_e32 v108, v108, v112
	v_mul_f16_e32 v112, 0x3bf1, v40
	v_add_f16_e32 v6, v6, v7
	v_fma_f16 v7, v59, s0, v91
	v_fma_f16 v113, v42, s5, v112
	v_add_f16_e32 v6, v6, v7
	v_fma_f16 v7, v62, s3, v92
	v_add_f16_e32 v108, v108, v113
	v_mul_f16_e32 v113, 0x3770, v43
	v_add_f16_e32 v6, v6, v7
	v_fma_f16 v7, v27, s5, -v93
	v_fma_f16 v114, v45, s1, v113
	v_add_f16_sdwa v7, v30, v7 dst_sel:DWORD dst_unused:UNUSED_PAD src0_sel:WORD_1 src1_sel:DWORD
	v_fma_f16 v8, v29, s0, -v95
	v_add_f16_e32 v108, v108, v114
	v_mul_f16_e32 v114, 0xba95, v47
	v_add_f16_e32 v7, v7, v8
	v_fma_f16 v8, v36, s4, -v96
	v_fma_f16 v115, v46, s3, -v114
	v_mul_f16_e32 v116, 0xbb7b, v51
	v_add_f16_e32 v7, v7, v8
	v_fma_f16 v8, v39, s1, -v97
	v_add_f16_e32 v115, v30, v115
	v_fma_f16 v117, v50, s4, -v116
	;; [unrolled: 2-line block ×3, first 2 shown]
	v_add_f16_e32 v115, v115, v117
	v_mul_f16_e32 v117, 0xb3a8, v54
	v_add_f16_e32 v7, v7, v8
	v_fma_f16 v8, v45, s2, -v99
	v_fma_f16 v118, v53, s0, -v117
	v_add_f16_e32 v7, v7, v8
	v_fma_f16 v8, v46, s5, v100
	v_add_f16_e32 v115, v115, v118
	v_mul_f16_e32 v118, 0x394e, v57
	v_add_f16_e32 v8, v30, v8
	v_fma_f16 v9, v50, s0, v102
	v_fma_f16 v119, v56, s2, -v118
	v_add_f16_e32 v8, v8, v9
	v_fma_f16 v9, v53, s4, v103
	v_add_f16_e32 v115, v115, v119
	v_mul_f16_e32 v119, 0x3bf1, v60
	v_add_f16_e32 v8, v8, v9
	v_fma_f16 v9, v56, s1, v104
	;; [unrolled: 7-line block ×3, first 2 shown]
	v_fma_f16 v121, v62, s1, -v120
	v_mul_f16_e32 v26, 0xb770, v26
	v_add_f16_e32 v8, v8, v9
	v_fma_f16 v9, v27, s3, -v107
	v_add_f16_e32 v115, v115, v121
	v_fma_f16 v121, v27, s1, v26
	v_mul_f16_e32 v28, 0xba95, v28
	v_add_f16_e32 v16, v30, v16
	v_add_f16_sdwa v9, v30, v9 dst_sel:DWORD dst_unused:UNUSED_PAD src0_sel:WORD_1 src1_sel:DWORD
	v_fma_f16 v10, v29, s4, -v109
	v_add_f16_sdwa v121, v30, v121 dst_sel:DWORD dst_unused:UNUSED_PAD src0_sel:WORD_1 src1_sel:DWORD
	v_fma_f16 v122, v29, s3, v28
	v_mul_f16_e32 v31, 0xbbf1, v31
	v_add_f16_e32 v16, v16, v17
	v_add_f16_e32 v9, v9, v10
	v_fma_f16 v10, v36, s0, -v110
	v_add_f16_e32 v121, v121, v122
	v_fma_f16 v122, v36, s5, v31
	v_mul_f16_e32 v37, 0xbb7b, v37
	v_add_f16_e32 v16, v16, v18
	v_add_f16_e32 v9, v9, v10
	v_fma_f16 v10, v39, s2, -v111
	v_add_f16_e32 v121, v121, v122
	;; [unrolled: 6-line block ×4, first 2 shown]
	v_fma_f16 v122, v45, s0, v43
	v_mul_f16_e32 v47, 0xb770, v47
	v_add_f16_e32 v16, v16, v23
	v_add_f16_e32 v9, v9, v10
	v_fma_f16 v10, v46, s3, v114
	v_add_f16_e32 v121, v121, v122
	v_fma_f16 v122, v46, s1, -v47
	v_mul_f16_e32 v51, 0xba95, v51
	v_add_f16_e32 v16, v16, v20
	v_add_f16_e32 v10, v30, v10
	v_fma_f16 v11, v50, s4, v116
	v_add_f16_e32 v122, v30, v122
	v_fma_f16 v123, v50, s3, -v51
	;; [unrolled: 6-line block ×6, first 2 shown]
	v_add_f16_e32 v14, v14, v15
	v_add_f16_e32 v10, v10, v11
	v_fma_f16 v11, v27, s1, -v26
	v_add_f16_e32 v122, v122, v123
	v_fma_f16 v15, v29, s3, -v28
	v_add_f16_sdwa v11, v30, v11 dst_sel:DWORD dst_unused:UNUSED_PAD src0_sel:WORD_1 src1_sel:DWORD
	v_pack_b32_f16 v0, v14, v0
	v_add_f16_e32 v11, v11, v15
	v_fma_f16 v15, v36, s5, -v31
	global_store_dword v[12:13], v0, off
	v_pack_b32_f16 v0, v122, v121
	v_add_f16_e32 v11, v11, v15
	v_fma_f16 v15, v39, s4, -v37
	global_store_dword v[12:13], v0, off offset:24
	v_pack_b32_f16 v0, v115, v108
	v_add_f16_e32 v11, v11, v15
	v_fma_f16 v15, v42, s2, -v40
	global_store_dword v[12:13], v0, off offset:48
	;; [unrolled: 4-line block ×3, first 2 shown]
	v_pack_b32_f16 v0, v87, v80
	v_add_f16_e32 v11, v11, v15
	v_fma_f16 v15, v46, s1, v47
	global_store_dword v[12:13], v0, off offset:96
	v_pack_b32_f16 v0, v73, v66
	v_add_f16_e32 v15, v30, v15
	v_fma_f16 v16, v50, s3, v51
	global_store_dword v[12:13], v0, off offset:120
	;; [unrolled: 4-line block ×6, first 2 shown]
	v_pack_b32_f16 v0, v8, v7
	v_add_f16_e32 v15, v15, v16
	global_store_dword v[12:13], v0, off offset:240
	v_pack_b32_f16 v0, v10, v9
	global_store_dword v[12:13], v0, off offset:264
	v_pack_b32_f16 v0, v15, v11
	global_store_dword v[12:13], v0, off offset:288
.LBB0_16:
	s_endpgm
	.section	.rodata,"a",@progbits
	.p2align	6, 0x0
	.amdhsa_kernel fft_rtc_fwd_len78_factors_6_13_wgs_247_tpt_13_half_op_CI_CI_unitstride_sbrr_dirReg
		.amdhsa_group_segment_fixed_size 0
		.amdhsa_private_segment_fixed_size 0
		.amdhsa_kernarg_size 104
		.amdhsa_user_sgpr_count 6
		.amdhsa_user_sgpr_private_segment_buffer 1
		.amdhsa_user_sgpr_dispatch_ptr 0
		.amdhsa_user_sgpr_queue_ptr 0
		.amdhsa_user_sgpr_kernarg_segment_ptr 1
		.amdhsa_user_sgpr_dispatch_id 0
		.amdhsa_user_sgpr_flat_scratch_init 0
		.amdhsa_user_sgpr_private_segment_size 0
		.amdhsa_uses_dynamic_stack 0
		.amdhsa_system_sgpr_private_segment_wavefront_offset 0
		.amdhsa_system_sgpr_workgroup_id_x 1
		.amdhsa_system_sgpr_workgroup_id_y 0
		.amdhsa_system_sgpr_workgroup_id_z 0
		.amdhsa_system_sgpr_workgroup_info 0
		.amdhsa_system_vgpr_workitem_id 0
		.amdhsa_next_free_vgpr 124
		.amdhsa_next_free_sgpr 28
		.amdhsa_reserve_vcc 1
		.amdhsa_reserve_flat_scratch 0
		.amdhsa_float_round_mode_32 0
		.amdhsa_float_round_mode_16_64 0
		.amdhsa_float_denorm_mode_32 3
		.amdhsa_float_denorm_mode_16_64 3
		.amdhsa_dx10_clamp 1
		.amdhsa_ieee_mode 1
		.amdhsa_fp16_overflow 0
		.amdhsa_exception_fp_ieee_invalid_op 0
		.amdhsa_exception_fp_denorm_src 0
		.amdhsa_exception_fp_ieee_div_zero 0
		.amdhsa_exception_fp_ieee_overflow 0
		.amdhsa_exception_fp_ieee_underflow 0
		.amdhsa_exception_fp_ieee_inexact 0
		.amdhsa_exception_int_div_zero 0
	.end_amdhsa_kernel
	.text
.Lfunc_end0:
	.size	fft_rtc_fwd_len78_factors_6_13_wgs_247_tpt_13_half_op_CI_CI_unitstride_sbrr_dirReg, .Lfunc_end0-fft_rtc_fwd_len78_factors_6_13_wgs_247_tpt_13_half_op_CI_CI_unitstride_sbrr_dirReg
                                        ; -- End function
	.section	.AMDGPU.csdata,"",@progbits
; Kernel info:
; codeLenInByte = 5352
; NumSgprs: 32
; NumVgprs: 124
; ScratchSize: 0
; MemoryBound: 0
; FloatMode: 240
; IeeeMode: 1
; LDSByteSize: 0 bytes/workgroup (compile time only)
; SGPRBlocks: 3
; VGPRBlocks: 30
; NumSGPRsForWavesPerEU: 32
; NumVGPRsForWavesPerEU: 124
; Occupancy: 2
; WaveLimiterHint : 1
; COMPUTE_PGM_RSRC2:SCRATCH_EN: 0
; COMPUTE_PGM_RSRC2:USER_SGPR: 6
; COMPUTE_PGM_RSRC2:TRAP_HANDLER: 0
; COMPUTE_PGM_RSRC2:TGID_X_EN: 1
; COMPUTE_PGM_RSRC2:TGID_Y_EN: 0
; COMPUTE_PGM_RSRC2:TGID_Z_EN: 0
; COMPUTE_PGM_RSRC2:TIDIG_COMP_CNT: 0
	.type	__hip_cuid_c5e0493036ae630e,@object ; @__hip_cuid_c5e0493036ae630e
	.section	.bss,"aw",@nobits
	.globl	__hip_cuid_c5e0493036ae630e
__hip_cuid_c5e0493036ae630e:
	.byte	0                               ; 0x0
	.size	__hip_cuid_c5e0493036ae630e, 1

	.ident	"AMD clang version 19.0.0git (https://github.com/RadeonOpenCompute/llvm-project roc-6.4.0 25133 c7fe45cf4b819c5991fe208aaa96edf142730f1d)"
	.section	".note.GNU-stack","",@progbits
	.addrsig
	.addrsig_sym __hip_cuid_c5e0493036ae630e
	.amdgpu_metadata
---
amdhsa.kernels:
  - .args:
      - .actual_access:  read_only
        .address_space:  global
        .offset:         0
        .size:           8
        .value_kind:     global_buffer
      - .offset:         8
        .size:           8
        .value_kind:     by_value
      - .actual_access:  read_only
        .address_space:  global
        .offset:         16
        .size:           8
        .value_kind:     global_buffer
      - .actual_access:  read_only
        .address_space:  global
        .offset:         24
        .size:           8
        .value_kind:     global_buffer
      - .actual_access:  read_only
        .address_space:  global
        .offset:         32
        .size:           8
        .value_kind:     global_buffer
      - .offset:         40
        .size:           8
        .value_kind:     by_value
      - .actual_access:  read_only
        .address_space:  global
        .offset:         48
        .size:           8
        .value_kind:     global_buffer
      - .actual_access:  read_only
        .address_space:  global
        .offset:         56
        .size:           8
        .value_kind:     global_buffer
      - .offset:         64
        .size:           4
        .value_kind:     by_value
      - .actual_access:  read_only
        .address_space:  global
        .offset:         72
        .size:           8
        .value_kind:     global_buffer
      - .actual_access:  read_only
        .address_space:  global
        .offset:         80
        .size:           8
        .value_kind:     global_buffer
      - .actual_access:  read_only
        .address_space:  global
        .offset:         88
        .size:           8
        .value_kind:     global_buffer
      - .actual_access:  write_only
        .address_space:  global
        .offset:         96
        .size:           8
        .value_kind:     global_buffer
    .group_segment_fixed_size: 0
    .kernarg_segment_align: 8
    .kernarg_segment_size: 104
    .language:       OpenCL C
    .language_version:
      - 2
      - 0
    .max_flat_workgroup_size: 247
    .name:           fft_rtc_fwd_len78_factors_6_13_wgs_247_tpt_13_half_op_CI_CI_unitstride_sbrr_dirReg
    .private_segment_fixed_size: 0
    .sgpr_count:     32
    .sgpr_spill_count: 0
    .symbol:         fft_rtc_fwd_len78_factors_6_13_wgs_247_tpt_13_half_op_CI_CI_unitstride_sbrr_dirReg.kd
    .uniform_work_group_size: 1
    .uses_dynamic_stack: false
    .vgpr_count:     124
    .vgpr_spill_count: 0
    .wavefront_size: 64
amdhsa.target:   amdgcn-amd-amdhsa--gfx906
amdhsa.version:
  - 1
  - 2
...

	.end_amdgpu_metadata
